;; amdgpu-corpus repo=ROCm/rocm-examples kind=compiled arch=gfx1201 opt=O3
	.amdgcn_target "amdgcn-amd-amdhsa--gfx1201"
	.amdhsa_code_object_version 6
	.text
	.protected	_Z14gemm_rocwmma_djjjPKDF16_S0_S0_PDF16_jjjjff ; -- Begin function _Z14gemm_rocwmma_djjjPKDF16_S0_S0_PDF16_jjjjff
	.globl	_Z14gemm_rocwmma_djjjPKDF16_S0_S0_PDF16_jjjjff
	.p2align	8
	.type	_Z14gemm_rocwmma_djjjPKDF16_S0_S0_PDF16_jjjjff,@function
_Z14gemm_rocwmma_djjjPKDF16_S0_S0_PDF16_jjjjff: ; @_Z14gemm_rocwmma_djjjPKDF16_S0_S0_PDF16_jjjjff
; %bb.0:
	v_and_b32_e32 v1, 0x3ff, v0
	s_load_b96 s[16:18], s[0:1], 0x0
	v_bfe_u32 v0, v0, 10, 10
	s_lshl_b32 s20, ttmp9, 7
	s_lshl_b32 s22, ttmp7, 6
	v_lshlrev_b32_e32 v74, 1, v1
	s_delay_alu instid0(VALU_DEP_2) | instskip(NEXT) | instid1(VALU_DEP_2)
	v_lshlrev_b32_e32 v76, 5, v0
	v_and_b32_e32 v77, 0x1c0, v74
	s_delay_alu instid0(VALU_DEP_2) | instskip(NEXT) | instid1(VALU_DEP_2)
	v_add_nc_u32_e32 v64, s22, v76
	v_add_nc_u32_e32 v73, s20, v77
	s_delay_alu instid0(VALU_DEP_2) | instskip(NEXT) | instid1(VALU_DEP_2)
	v_add_nc_u32_e32 v3, 32, v64
	v_add_nc_u32_e32 v2, 64, v73
	s_wait_kmcnt 0x0
	s_delay_alu instid0(VALU_DEP_2) | instskip(NEXT) | instid1(VALU_DEP_2)
	v_cmp_ge_u32_e64 s2, s17, v3
	v_cmp_ge_u32_e32 vcc_lo, s16, v2
	s_and_b32 s2, vcc_lo, s2
	s_delay_alu instid0(SALU_CYCLE_1)
	s_and_saveexec_b32 s3, s2
	s_cbranch_execz .LBB0_9
; %bb.1:
	s_clause 0x1
	s_load_b128 s[12:15], s[0:1], 0x30
	s_load_b64 s[2:3], s[0:1], 0x40
	v_lshrrev_b32_e32 v2, 4, v1
	v_lshrrev_b32_e32 v3, 3, v1
	v_lshlrev_b32_e32 v4, 3, v1
	s_load_b256 s[4:11], s[0:1], 0x10
	s_mov_b32 s21, 0
	v_and_b32_e32 v2, 62, v2
	v_and_b32_e32 v3, 2, v3
	;; [unrolled: 1-line block ×3, first 2 shown]
	s_wait_alu 0xfffe
	s_lshl_b64 s[0:1], s[20:21], 1
	s_mov_b32 s23, s21
	v_add_nc_u32_e32 v0, v2, v0
	v_lshlrev_b32_e32 v2, 2, v1
	s_wait_alu 0xfffe
	s_lshl_b64 s[16:17], s[22:23], 1
	v_and_b32_e32 v80, 30, v74
	v_lshrrev_b32_e32 v83, 1, v1
	v_lshl_or_b32 v17, v0, 2, v3
	v_and_b32_e32 v0, 60, v2
	s_cmp_gt_u32 s18, 16
	s_wait_kmcnt 0x0
	s_delay_alu instid0(VALU_DEP_2)
	v_mad_co_u64_u32 v[6:7], null, s12, v17, v[12:13]
	v_mov_b32_e32 v7, 0
	v_mad_co_u64_u32 v[2:3], null, s13, v17, v[0:1]
	s_add_nc_u64 s[0:1], s[4:5], s[0:1]
	s_wait_alu 0xfffe
	s_add_nc_u64 s[16:17], s[6:7], s[16:17]
	v_mov_b32_e32 v3, v7
	v_lshlrev_b64_e32 v[65:66], 1, v[6:7]
	v_add_nc_u32_e32 v6, s12, v6
	s_delay_alu instid0(VALU_DEP_3) | instskip(NEXT) | instid1(VALU_DEP_2)
	v_lshlrev_b64_e32 v[67:68], 1, v[2:3]
	v_lshlrev_b64_e32 v[69:70], 1, v[6:7]
	v_add_nc_u32_e32 v6, s13, v2
	v_add_co_u32 v2, vcc_lo, s0, v65
	s_delay_alu instid0(VALU_DEP_1) | instskip(NEXT) | instid1(VALU_DEP_3)
	v_add_co_ci_u32_e64 v3, null, s1, v66, vcc_lo
	v_lshlrev_b64_e32 v[71:72], 1, v[6:7]
	s_wait_alu 0xfffe
	v_add_co_u32 v13, vcc_lo, s16, v67
	s_wait_alu 0xfffd
	v_add_co_ci_u32_e64 v14, null, s17, v68, vcc_lo
	v_add_co_u32 v8, vcc_lo, s0, v69
	s_wait_alu 0xfffd
	v_add_co_ci_u32_e64 v9, null, s1, v70, vcc_lo
	;; [unrolled: 3-line block ×3, first 2 shown]
	s_clause 0x1
	global_load_b128 v[2:5], v[2:3], off
	global_load_b128 v[8:11], v[8:9], off
	s_clause 0x1
	global_load_b64 v[13:14], v[13:14], off
	global_load_b64 v[15:16], v[15:16], off
	v_mul_u32_u24_e32 v6, 0xc0, v17
	s_delay_alu instid0(VALU_DEP_1) | instskip(SKIP_1) | instid1(VALU_DEP_2)
	v_or_b32_e32 v81, v6, v12
	v_or_b32_e32 v82, v6, v0
	v_lshl_add_u32 v6, v81, 1, 0
	s_delay_alu instid0(VALU_DEP_2)
	v_lshl_add_u32 v12, v82, 1, 0
	s_wait_loadcnt 0x3
	ds_store_b128 v6, v[2:5]
	s_wait_loadcnt 0x2
	ds_store_b128 v6, v[8:11] offset:384
	s_wait_loadcnt 0x0
	ds_store_2addr_b64 v12, v[13:14], v[15:16] offset0:32 offset1:80
	s_wait_dscnt 0x0
	s_barrier_signal -1
	s_barrier_wait -1
	global_inv scope:SCOPE_SE
	s_cbranch_scc1 .LBB0_3
; %bb.2:
	v_and_b32_e32 v1, 8, v83
	v_and_b32_e32 v75, 30, v74
	s_mov_b32 s0, 0
	s_delay_alu instid0(VALU_DEP_2)
	v_mul_u32_u24_e32 v79, 0xc0, v1
	s_branch .LBB0_4
.LBB0_3:
	s_mov_b32 s0, -1
                                        ; implicit-def: $vgpr75
                                        ; implicit-def: $vgpr79
.LBB0_4:
	v_dual_mov_b32 v5, 0 :: v_dual_lshlrev_b32 v78, 1, v0
	v_dual_mov_b32 v6, 0 :: v_dual_mov_b32 v3, 0
	v_dual_mov_b32 v4, 0 :: v_dual_mov_b32 v1, 0
	;; [unrolled: 1-line block ×30, first 2 shown]
	v_mov_b32_e32 v18, 0
	v_mov_b32_e32 v16, 0
	s_wait_alu 0xfffe
	s_and_not1_b32 vcc_lo, exec_lo, s0
	s_wait_alu 0xfffe
	s_cbranch_vccnz .LBB0_8
; %bb.5:
	v_dual_mov_b32 v16, 0 :: v_dual_lshlrev_b32 v75, 1, v80
	v_and_b32_e32 v0, 8, v83
	s_lshl_b32 s19, s12, 4
	s_lshl_b32 s24, s13, 4
	s_delay_alu instid0(VALU_DEP_2) | instskip(SKIP_4) | instid1(VALU_DEP_3)
	v_mov_b32_e32 v17, v16
	v_dual_mov_b32 v19, v16 :: v_dual_mov_b32 v20, v16
	v_mul_u32_u24_e32 v79, 0xc0, v0
	v_dual_mov_b32 v21, v16 :: v_dual_mov_b32 v22, v16
	v_dual_mov_b32 v18, v16 :: v_dual_mov_b32 v23, v16
	v_dual_mov_b32 v8, v16 :: v_dual_lshlrev_b32 v83, 1, v79
	v_dual_mov_b32 v9, v16 :: v_dual_mov_b32 v10, v16
	v_dual_mov_b32 v11, v16 :: v_dual_mov_b32 v12, v16
	;; [unrolled: 1-line block ×27, first 2 shown]
	v_mov_b32_e32 v7, v16
	s_mov_b32 s13, 0
	s_add_co_i32 s25, 0, 0x1800
	s_add_co_i32 s12, s20, s19
	;; [unrolled: 1-line block ×3, first 2 shown]
	s_mov_b32 s20, 16
	s_wait_alu 0xfffe
	s_mov_b32 s17, s13
.LBB0_6:                                ; =>This Inner Loop Header: Depth=1
	s_mov_b32 s21, s25
	s_wait_alu 0xfffe
	s_mov_b32 s25, s17
	s_lshl_b64 s[0:1], s[12:13], 1
	s_wait_alu 0xfffe
	v_lshl_add_u32 v84, v77, 1, s25
	v_lshl_add_u32 v110, v76, 1, s25
	s_mov_b32 s17, s13
	s_add_nc_u64 s[0:1], s[4:5], s[0:1]
	s_wait_alu 0xfffe
	s_lshl_b64 s[22:23], s[16:17], 1
	v_add3_u32 v88, v84, v83, v78
	v_add3_u32 v92, v84, v78, v83
	;; [unrolled: 1-line block ×3, first 2 shown]
	s_wait_alu 0xfffe
	s_add_nc_u64 s[22:23], s[6:7], s[22:23]
	ds_load_b64 v[94:95], v88 offset:768
	ds_load_2addr_b64 v[84:87], v92 offset0:144 offset1:192
	ds_load_2addr_b64 v[88:91], v88 offset1:48
	v_add_nc_u32_e32 v102, 0x400, v92
	v_add_nc_u32_e32 v109, 0x800, v93
	;; [unrolled: 1-line block ×3, first 2 shown]
	ds_load_b64 v[98:99], v92 offset:2688
	ds_load_b32 v111, v93 offset:2944
	s_add_co_i32 s20, s20, 16
	ds_load_2addr_b64 v[104:107], v102 offset0:112 offset1:160
	s_add_co_i32 s12, s12, s19
	s_add_co_i32 s16, s16, s24
	s_mov_b32 s17, s21
	s_wait_alu 0xfffe
	s_cmp_ge_u32 s20, s18
	s_wait_dscnt 0x4
	v_perm_b32 v93, v85, v95, 0x7060302
	s_wait_dscnt 0x3
	v_perm_b32 v92, v91, v89, 0x7060302
	v_perm_b32 v97, v85, v95, 0x5040100
	;; [unrolled: 1-line block ×5, first 2 shown]
	ds_load_2addr_b32 v[84:85], v109 offset0:32 offset1:128
	ds_load_2addr_b32 v[108:109], v108 offset0:96 offset1:192
	v_perm_b32 v100, v90, v88, 0x7060302
	v_perm_b32 v88, v90, v88, 0x5040100
	s_wait_dscnt 0x2
	v_perm_b32 v103, v98, v106, 0x7060302
	v_perm_b32 v91, v98, v106, 0x5040100
	;; [unrolled: 1-line block ×8, first 2 shown]
	s_wait_dscnt 0x1
	v_perm_b32 v87, v111, v85, 0x7060302
	s_wait_dscnt 0x0
	v_perm_b32 v86, v84, v109, 0x7060302
	v_perm_b32 v106, v84, v109, 0x5040100
	v_add3_u32 v84, v110, v83, v75
	v_perm_b32 v107, v111, v85, 0x5040100
	v_add_co_u32 v109, vcc_lo, s0, v65
	v_add_co_u32 v111, s0, s0, v69
	ds_load_2addr_b32 v[113:114], v84 offset0:64 offset1:160
	ds_load_b32 v85, v84 offset:1024
	s_wait_alu 0xfffd
	v_add_co_ci_u32_e64 v110, null, s1, v66, vcc_lo
	s_wait_alu 0xf1ff
	v_add_co_ci_u32_e64 v112, null, s1, v70, s0
	v_add_co_u32 v115, s0, s22, v71
	s_wait_alu 0xf1ff
	v_add_co_ci_u32_e64 v116, null, s23, v72, s0
	s_wait_dscnt 0x1
	v_perm_b32 v104, v114, v113, 0x5040100
	v_perm_b32 v84, v114, v113, 0x7060302
	v_add_co_u32 v113, vcc_lo, s22, v67
	s_wait_dscnt 0x0
	v_perm_b32 v105, v108, v85, 0x5040100
	v_perm_b32 v85, v108, v85, 0x7060302
	s_wait_alu 0xfffd
	v_add_co_ci_u32_e64 v114, null, s23, v68, vcc_lo
	s_delay_alu instid0(VALU_DEP_3) | instskip(NEXT) | instid1(VALU_DEP_3)
	v_wmma_f32_16x16x16_f16 v[56:63], v[88:91], v[104:107], v[56:63]
	v_wmma_f32_16x16x16_f16 v[32:39], v[88:91], v[84:87], v[32:39]
	global_load_b128 v[88:91], v[109:110], off
	v_wmma_f32_16x16x16_f16 v[48:55], v[100:103], v[104:107], v[48:55]
	v_wmma_f32_16x16x16_f16 v[24:31], v[100:103], v[84:87], v[24:31]
	global_load_b128 v[100:103], v[111:112], off
	s_clause 0x1
	global_load_b64 v[108:109], v[113:114], off
	global_load_b64 v[110:111], v[115:116], off
	v_lshl_add_u32 v112, v81, 1, s21
	v_wmma_f32_16x16x16_f16 v[40:47], v[96:99], v[104:107], v[40:47]
	v_wmma_f32_16x16x16_f16 v[0:7], v[96:99], v[84:87], v[0:7]
	v_wmma_f32_16x16x16_f16 v[16:23], v[92:95], v[104:107], v[16:23]
	v_wmma_f32_16x16x16_f16 v[8:15], v[92:95], v[84:87], v[8:15]
	v_lshl_add_u32 v113, v82, 1, s21
	s_wait_loadcnt 0x3
	ds_store_b128 v112, v[88:91]
	s_wait_loadcnt 0x2
	ds_store_b128 v112, v[100:103] offset:384
	s_wait_loadcnt 0x0
	ds_store_2addr_b64 v113, v[108:109], v[110:111] offset0:32 offset1:80
	s_wait_dscnt 0x0
	s_barrier_signal -1
	s_barrier_wait -1
	global_inv scope:SCOPE_SE
	s_cbranch_scc0 .LBB0_6
; %bb.7:
	v_mov_b32_e32 v75, v80
.LBB0_8:
	v_lshl_add_u32 v65, v77, 1, s21
	v_lshlrev_b32_e32 v80, 1, v79
	v_lshl_add_u32 v84, v76, 1, s21
	s_delay_alu instid0(VALU_DEP_4) | instskip(NEXT) | instid1(VALU_DEP_3)
	v_lshlrev_b32_e32 v85, 1, v75
	v_add3_u32 v81, v65, v78, v80
	v_add3_u32 v69, v65, v80, v78
	s_delay_alu instid0(VALU_DEP_3)
	v_add3_u32 v86, v84, v85, v80
	v_add3_u32 v80, v84, v80, v85
	ds_load_b64 v[82:83], v69 offset:768
	ds_load_2addr_b64 v[65:68], v81 offset0:144 offset1:192
	v_add_nc_u32_e32 v76, 0x400, v81
	ds_load_2addr_b64 v[69:72], v69 offset1:48
	ds_load_2addr_b64 v[76:79], v76 offset0:112 offset1:160
	ds_load_b64 v[95:96], v81 offset:2688
	v_add_nc_u32_e32 v81, 0x800, v86
	v_add_nc_u32_e32 v87, 0x400, v86
	ds_load_b32 v88, v86 offset:2944
	ds_load_2addr_b32 v[97:98], v81 offset0:32 offset1:128
	ds_load_2addr_b32 v[100:101], v87 offset0:96 offset1:192
	ds_load_b32 v104, v80 offset:1024
	ds_load_2addr_b32 v[102:103], v80 offset0:64 offset1:160
	s_wait_dscnt 0x8
	v_perm_b32 v81, v66, v83, 0x7060302
	v_perm_b32 v85, v66, v83, 0x5040100
	v_perm_b32 v89, v65, v82, 0x7060302
	v_perm_b32 v93, v65, v82, 0x5040100
	s_wait_dscnt 0x7
	v_perm_b32 v80, v72, v70, 0x7060302
	s_wait_dscnt 0x6
	v_perm_b32 v90, v76, v67, 0x7060302
	v_perm_b32 v94, v76, v67, 0x5040100
	v_and_b32_e32 v67, 32, v74
	v_perm_b32 v84, v72, v70, 0x5040100
	v_mad_co_u64_u32 v[65:66], null, s14, v73, v[64:65]
	v_mov_b32_e32 v66, 0
	s_delay_alu instid0(VALU_DEP_4)
	v_mul_lo_u32 v72, s14, v67
	v_perm_b32 v92, v71, v69, 0x5040100
	v_perm_b32 v82, v77, v68, 0x7060302
	;; [unrolled: 1-line block ×3, first 2 shown]
	s_wait_dscnt 0x5
	v_perm_b32 v83, v96, v79, 0x7060302
	v_perm_b32 v87, v96, v79, 0x5040100
	s_wait_dscnt 0x3
	v_perm_b32 v79, v88, v98, 0x7060302
	v_perm_b32 v99, v88, v98, 0x5040100
	;; [unrolled: 1-line block ×3, first 2 shown]
	v_lshlrev_b64_e32 v[68:69], 1, v[65:66]
	v_or_b32_e32 v65, v72, v75
	v_perm_b32 v91, v95, v78, 0x7060302
	v_perm_b32 v95, v95, v78, 0x5040100
	s_wait_dscnt 0x2
	v_perm_b32 v78, v97, v101, 0x7060302
	v_perm_b32 v98, v97, v101, 0x5040100
	v_lshlrev_b64_e32 v[70:71], 1, v[65:66]
	v_add3_u32 v65, v72, s14, v75
	v_add_co_u32 v106, vcc_lo, s8, v68
	s_wait_dscnt 0x1
	v_perm_b32 v77, v100, v104, 0x7060302
	v_perm_b32 v97, v100, v104, 0x5040100
	s_wait_dscnt 0x0
	v_perm_b32 v96, v103, v102, 0x5040100
	v_perm_b32 v76, v103, v102, 0x7060302
	s_wait_alu 0xfffd
	v_add_co_ci_u32_e64 v107, null, s9, v69, vcc_lo
	v_lshlrev_b64_e32 v[68:69], 1, v[65:66]
	v_add_nc_u32_e32 v65, s14, v65
	v_wmma_f32_16x16x16_f16 v[40:47], v[84:87], v[96:99], v[40:47]
	v_wmma_f32_16x16x16_f16 v[0:7], v[84:87], v[76:79], v[0:7]
	v_add_co_u32 v70, vcc_lo, v106, v70
	s_delay_alu instid0(VALU_DEP_4)
	v_lshlrev_b64_e32 v[84:85], 1, v[65:66]
	v_add_nc_u32_e32 v65, s14, v65
	s_wait_alu 0xfffd
	v_add_co_ci_u32_e64 v71, null, v107, v71, vcc_lo
	v_add_co_u32 v86, vcc_lo, v106, v68
	v_wmma_f32_16x16x16_f16 v[48:55], v[88:91], v[96:99], v[48:55]
	v_wmma_f32_16x16x16_f16 v[24:31], v[88:91], v[76:79], v[24:31]
	s_wait_alu 0xfffd
	v_add_co_ci_u32_e64 v87, null, v107, v69, vcc_lo
	v_lshlrev_b64_e32 v[88:89], 1, v[65:66]
	v_add_nc_u32_e32 v65, s14, v65
	v_add_co_u32 v69, vcc_lo, v106, v84
	v_wmma_f32_16x16x16_f16 v[56:63], v[92:95], v[96:99], v[56:63]
	v_wmma_f32_16x16x16_f16 v[16:23], v[80:83], v[96:99], v[16:23]
	s_clause 0x1
	global_load_b32 v68, v[70:71], off
	global_load_b32 v97, v[86:87], off
	s_wait_alu 0xfffd
	v_add_co_ci_u32_e64 v70, null, v107, v85, vcc_lo
	v_lshlrev_b64_e32 v[84:85], 1, v[65:66]
	v_add_nc_u32_e32 v65, s14, v65
	v_add_co_u32 v71, vcc_lo, v106, v88
	s_wait_alu 0xfffd
	v_add_co_ci_u32_e64 v72, null, v107, v89, vcc_lo
	v_wmma_f32_16x16x16_f16 v[32:39], v[92:95], v[76:79], v[32:39]
	v_wmma_f32_16x16x16_f16 v[8:15], v[80:83], v[76:79], v[8:15]
	v_lshlrev_b64_e32 v[76:77], 1, v[65:66]
	v_add_nc_u32_e32 v65, s14, v65
	s_clause 0x1
	global_load_b32 v98, v[69:70], off
	global_load_b32 v99, v[71:72], off
	v_add_co_u32 v69, vcc_lo, v106, v84
	s_wait_alu 0xfffd
	v_add_co_ci_u32_e64 v70, null, v107, v85, vcc_lo
	v_add_co_u32 v71, vcc_lo, v106, v76
	v_lshlrev_b64_e32 v[78:79], 1, v[65:66]
	v_add_nc_u32_e32 v65, s14, v65
	s_wait_alu 0xfffd
	v_add_co_ci_u32_e64 v72, null, v107, v77, vcc_lo
	global_load_b32 v81, v[69:70], off
	v_add_co_u32 v76, vcc_lo, v106, v78
	global_load_b32 v80, v[71:72], off
	v_lshlrev_b64_e32 v[69:70], 1, v[65:66]
	v_add_nc_u32_e32 v65, s14, v65
	s_wait_alu 0xfffd
	v_add_co_ci_u32_e64 v77, null, v107, v79, vcc_lo
	s_delay_alu instid0(VALU_DEP_2) | instskip(SKIP_4) | instid1(VALU_DEP_3)
	v_lshlrev_b64_e32 v[71:72], 1, v[65:66]
	v_add_nc_u32_e32 v65, s14, v65
	v_add_co_u32 v69, vcc_lo, v106, v69
	s_wait_alu 0xfffd
	v_add_co_ci_u32_e64 v70, null, v107, v70, vcc_lo
	v_lshlrev_b64_e32 v[82:83], 1, v[65:66]
	v_add_nc_u32_e32 v65, s14, v65
	v_add_co_u32 v71, vcc_lo, v106, v71
	s_wait_alu 0xfffd
	v_add_co_ci_u32_e64 v72, null, v107, v72, vcc_lo
	s_delay_alu instid0(VALU_DEP_3)
	v_lshlrev_b64_e32 v[84:85], 1, v[65:66]
	v_add_nc_u32_e32 v65, s14, v65
	s_clause 0x1
	global_load_b32 v78, v[69:70], off
	global_load_b32 v72, v[71:72], off
	v_add_co_u32 v69, vcc_lo, v106, v82
	s_wait_alu 0xfffd
	v_add_co_ci_u32_e64 v70, null, v107, v83, vcc_lo
	v_lshlrev_b64_e32 v[82:83], 1, v[65:66]
	v_add_nc_u32_e32 v65, s14, v65
	v_add_co_u32 v84, vcc_lo, v106, v84
	s_wait_alu 0xfffd
	v_add_co_ci_u32_e64 v85, null, v107, v85, vcc_lo
	s_delay_alu instid0(VALU_DEP_4)
	v_add_co_u32 v82, vcc_lo, v106, v82
	v_lshlrev_b64_e32 v[86:87], 1, v[65:66]
	v_add_nc_u32_e32 v65, s14, v65
	s_wait_alu 0xfffd
	v_add_co_ci_u32_e64 v83, null, v107, v83, vcc_lo
	s_clause 0x1
	global_load_b32 v77, v[76:77], off
	global_load_b32 v71, v[84:85], off
	v_add_co_u32 v86, vcc_lo, v106, v86
	s_clause 0x1
	global_load_b32 v74, v[82:83], off
	global_load_b32 v70, v[69:70], off
	v_lshlrev_b64_e32 v[84:85], 1, v[65:66]
	v_add_nc_u32_e32 v65, s14, v65
	s_wait_alu 0xfffd
	v_add_co_ci_u32_e64 v87, null, v107, v87, vcc_lo
	s_delay_alu instid0(VALU_DEP_2) | instskip(SKIP_4) | instid1(VALU_DEP_3)
	v_lshlrev_b64_e32 v[88:89], 1, v[65:66]
	v_add_nc_u32_e32 v65, s14, v65
	v_add_co_u32 v82, vcc_lo, v106, v84
	s_wait_alu 0xfffd
	v_add_co_ci_u32_e64 v83, null, v107, v85, vcc_lo
	v_lshlrev_b64_e32 v[84:85], 1, v[65:66]
	v_add_nc_u32_e32 v65, s14, v65
	s_clause 0x1
	global_load_b32 v69, v[86:87], off
	global_load_b32 v76, v[82:83], off
	v_add_co_u32 v86, vcc_lo, v106, v88
	v_lshlrev_b64_e32 v[82:83], 1, v[65:66]
	s_wait_alu 0xfffd
	v_add_co_ci_u32_e64 v87, null, v107, v89, vcc_lo
	v_add_co_u32 v84, vcc_lo, v106, v84
	s_wait_alu 0xfffd
	v_add_co_ci_u32_e64 v85, null, v107, v85, vcc_lo
	v_add_co_u32 v88, vcc_lo, v106, v82
	v_add_nc_u32_e32 v65, s14, v65
	s_wait_alu 0xfffd
	v_add_co_ci_u32_e64 v89, null, v107, v83, vcc_lo
	s_clause 0x2
	global_load_b32 v79, v[86:87], off
	global_load_b32 v83, v[88:89], off
	;; [unrolled: 1-line block ×3, first 2 shown]
	v_lshlrev_b64_e32 v[86:87], 1, v[65:66]
	v_add_nc_u32_e32 v65, s14, v65
	s_delay_alu instid0(VALU_DEP_1) | instskip(SKIP_1) | instid1(VALU_DEP_4)
	v_lshlrev_b64_e32 v[90:91], 1, v[65:66]
	v_add_nc_u32_e32 v65, s14, v65
	v_add_co_u32 v84, vcc_lo, v106, v86
	s_wait_alu 0xfffd
	v_add_co_ci_u32_e64 v85, null, v107, v87, vcc_lo
	s_delay_alu instid0(VALU_DEP_3) | instskip(SKIP_4) | instid1(VALU_DEP_3)
	v_lshlrev_b64_e32 v[86:87], 1, v[65:66]
	v_add_nc_u32_e32 v65, s14, v65
	v_add_co_u32 v88, vcc_lo, v106, v90
	s_wait_alu 0xfffd
	v_add_co_ci_u32_e64 v89, null, v107, v91, vcc_lo
	v_lshlrev_b64_e32 v[90:91], 1, v[65:66]
	v_add_co_u32 v86, vcc_lo, v106, v86
	s_wait_alu 0xfffd
	v_add_co_ci_u32_e64 v87, null, v107, v87, vcc_lo
	v_add_nc_u32_e32 v65, s14, v65
	s_delay_alu instid0(VALU_DEP_4)
	v_add_co_u32 v90, vcc_lo, v106, v90
	s_wait_alu 0xfffd
	v_add_co_ci_u32_e64 v91, null, v107, v91, vcc_lo
	s_clause 0x3
	global_load_b32 v84, v[84:85], off
	global_load_b32 v87, v[86:87], off
	;; [unrolled: 1-line block ×4, first 2 shown]
	v_lshlrev_b64_e32 v[88:89], 1, v[65:66]
	v_add_nc_u32_e32 v65, s14, v65
	s_delay_alu instid0(VALU_DEP_1) | instskip(SKIP_1) | instid1(VALU_DEP_4)
	v_lshlrev_b64_e32 v[92:93], 1, v[65:66]
	v_add_nc_u32_e32 v65, s14, v65
	v_add_co_u32 v88, vcc_lo, v106, v88
	s_wait_alu 0xfffd
	v_add_co_ci_u32_e64 v89, null, v107, v89, vcc_lo
	s_delay_alu instid0(VALU_DEP_3) | instskip(SKIP_4) | instid1(VALU_DEP_3)
	v_lshlrev_b64_e32 v[94:95], 1, v[65:66]
	v_add_nc_u32_e32 v65, s14, v65
	v_add_co_u32 v90, vcc_lo, v106, v92
	s_wait_alu 0xfffd
	v_add_co_ci_u32_e64 v91, null, v107, v93, vcc_lo
	v_lshlrev_b64_e32 v[100:101], 1, v[65:66]
	v_add_nc_u32_e32 v65, s14, v65
	v_add_co_u32 v92, vcc_lo, v106, v94
	s_wait_alu 0xfffd
	v_add_co_ci_u32_e64 v93, null, v107, v95, vcc_lo
	s_delay_alu instid0(VALU_DEP_3) | instskip(SKIP_4) | instid1(VALU_DEP_3)
	v_lshlrev_b64_e32 v[102:103], 1, v[65:66]
	v_add_nc_u32_e32 v65, s14, v65
	v_add_co_u32 v94, vcc_lo, v106, v100
	s_wait_alu 0xfffd
	v_add_co_ci_u32_e64 v95, null, v107, v101, vcc_lo
	v_lshlrev_b64_e32 v[100:101], 1, v[65:66]
	v_add_nc_u32_e32 v65, s14, v65
	s_clause 0x3
	global_load_b32 v88, v[88:89], off
	global_load_b32 v89, v[90:91], off
	;; [unrolled: 1-line block ×4, first 2 shown]
	v_add_co_u32 v92, vcc_lo, v106, v102
	s_wait_alu 0xfffd
	v_add_co_ci_u32_e64 v93, null, v107, v103, vcc_lo
	v_lshlrev_b64_e32 v[102:103], 1, v[65:66]
	v_add_nc_u32_e32 v65, s14, v65
	v_add_co_u32 v94, vcc_lo, v106, v100
	s_wait_alu 0xfffd
	v_add_co_ci_u32_e64 v95, null, v107, v101, vcc_lo
	s_delay_alu instid0(VALU_DEP_3)
	v_lshlrev_b64_e32 v[104:105], 1, v[65:66]
	v_add_nc_u32_e32 v65, s14, v65
	v_add_co_u32 v100, vcc_lo, v106, v102
	global_load_b32 v92, v[92:93], off
	s_wait_alu 0xfffd
	v_add_co_ci_u32_e64 v101, null, v107, v103, vcc_lo
	global_load_b32 v93, v[94:95], off
	v_add_co_u32 v95, vcc_lo, v106, v104
	v_lshlrev_b64_e32 v[102:103], 1, v[65:66]
	v_add_nc_u32_e32 v65, s14, v65
	s_wait_alu 0xfffd
	v_add_co_ci_u32_e64 v96, null, v107, v105, vcc_lo
	global_load_b32 v94, v[100:101], off
	v_lshlrev_b64_e32 v[104:105], 1, v[65:66]
	v_add_nc_u32_e32 v65, s14, v65
	global_load_b32 v96, v[95:96], off
	v_add_co_u32 v100, vcc_lo, v106, v102
	s_wait_alu 0xfffd
	v_add_co_ci_u32_e64 v101, null, v107, v103, vcc_lo
	v_lshlrev_b64_e32 v[102:103], 1, v[65:66]
	v_mad_co_u64_u32 v[64:65], null, s15, v73, v[64:65]
	global_load_b32 v95, v[100:101], off
	v_add_co_u32 v100, vcc_lo, v106, v104
	s_wait_alu 0xfffd
	v_add_co_ci_u32_e64 v101, null, v107, v105, vcc_lo
	v_add_co_u32 v102, vcc_lo, v106, v102
	s_wait_alu 0xfffd
	v_add_co_ci_u32_e64 v103, null, v107, v103, vcc_lo
	s_clause 0x1
	global_load_b32 v101, v[100:101], off
	global_load_b32 v100, v[102:103], off
	v_mov_b32_e32 v65, v66
	v_mul_lo_u32 v73, s15, v67
	s_delay_alu instid0(VALU_DEP_2) | instskip(NEXT) | instid1(VALU_DEP_2)
	v_lshlrev_b64_e32 v[102:103], 1, v[64:65]
	v_or_b32_e32 v65, v73, v75
	s_delay_alu instid0(VALU_DEP_2) | instskip(SKIP_1) | instid1(VALU_DEP_3)
	v_add_co_u32 v64, vcc_lo, s10, v102
	s_wait_alu 0xfffd
	v_add_co_ci_u32_e64 v67, null, s11, v103, vcc_lo
	s_delay_alu instid0(VALU_DEP_3)
	v_lshlrev_b64_e32 v[102:103], 1, v[65:66]
	v_add3_u32 v65, v73, s15, v75
	s_wait_loadcnt 0x1f
	v_cvt_f32_f16_e32 v104, v68
	v_lshrrev_b32_e32 v68, 16, v68
	s_wait_loadcnt 0x1e
	v_cvt_f32_f16_e32 v105, v97
	v_lshrrev_b32_e32 v73, 16, v97
	v_mul_f32_e32 v104, s3, v104
	v_cvt_f32_f16_e32 v68, v68
	s_delay_alu instid0(VALU_DEP_4) | instskip(NEXT) | instid1(VALU_DEP_4)
	v_mul_f32_e32 v75, s3, v105
	v_cvt_f32_f16_e32 v73, v73
	s_delay_alu instid0(VALU_DEP_4) | instskip(NEXT) | instid1(VALU_DEP_4)
	v_fma_mixlo_f16 v56, s2, v56, v104
	v_mul_f32_e32 v68, s3, v68
	s_delay_alu instid0(VALU_DEP_4) | instskip(NEXT) | instid1(VALU_DEP_4)
	v_fma_mixlo_f16 v48, s2, v48, v75
	v_mul_f32_e32 v73, s3, v73
	s_wait_loadcnt 0x1d
	v_cvt_f32_f16_e32 v97, v98
	v_lshrrev_b32_e32 v98, 16, v98
	v_fma_mixhi_f16 v56, s2, v32, v68
	v_fma_mixhi_f16 v48, s2, v24, v73
	s_delay_alu instid0(VALU_DEP_4) | instskip(NEXT) | instid1(VALU_DEP_4)
	v_mul_f32_e32 v75, s3, v97
	v_cvt_f32_f16_e32 v97, v98
	s_wait_loadcnt 0x1c
	v_cvt_f32_f16_e32 v98, v99
	v_lshrrev_b32_e32 v99, 16, v99
	v_fma_mixlo_f16 v40, s2, v40, v75
	v_mul_f32_e32 v68, s3, v97
	s_wait_loadcnt 0x1b
	v_cvt_f32_f16_e32 v32, v81
	v_lshrrev_b32_e32 v75, 16, v81
	v_mul_f32_e32 v81, s3, v98
	v_cvt_f32_f16_e32 v97, v99
	v_fma_mixhi_f16 v40, s2, v0, v68
	v_mul_f32_e32 v24, s3, v32
	s_wait_loadcnt 0x1a
	v_cvt_f32_f16_e32 v32, v80
	v_cvt_f32_f16_e32 v0, v75
	v_lshrrev_b32_e32 v68, 16, v80
	v_fma_mixlo_f16 v16, s2, v16, v81
	v_fma_mixlo_f16 v24, s2, v57, v24
	v_mul_f32_e32 v32, s3, v32
	v_mul_f32_e32 v0, s3, v0
	v_cvt_f32_f16_e32 v68, v68
	v_mul_f32_e32 v73, s3, v97
	s_delay_alu instid0(VALU_DEP_4) | instskip(NEXT) | instid1(VALU_DEP_4)
	v_fma_mixlo_f16 v32, s2, v49, v32
	v_fma_mixhi_f16 v24, s2, v33, v0
	s_delay_alu instid0(VALU_DEP_4) | instskip(NEXT) | instid1(VALU_DEP_4)
	v_mul_f32_e32 v0, s3, v68
	v_fma_mixhi_f16 v16, s2, v8, v73
	s_delay_alu instid0(VALU_DEP_2)
	v_fma_mixhi_f16 v32, s2, v25, v0
	s_wait_loadcnt 0x19
	v_lshrrev_b32_e32 v68, 16, v78
	s_wait_loadcnt 0x17
	v_cvt_f32_f16_e32 v57, v77
	v_lshrrev_b32_e32 v75, 16, v77
	s_delay_alu instid0(VALU_DEP_2) | instskip(NEXT) | instid1(VALU_DEP_2)
	v_mul_f32_e32 v49, s3, v57
	v_cvt_f32_f16_e32 v33, v75
	v_cvt_f32_f16_e32 v57, v78
	;; [unrolled: 1-line block ×3, first 2 shown]
	s_delay_alu instid0(VALU_DEP_4) | instskip(NEXT) | instid1(VALU_DEP_4)
	v_fma_mixlo_f16 v41, s2, v41, v49
	v_mul_f32_e32 v0, s3, v33
	s_delay_alu instid0(VALU_DEP_4)
	v_mul_f32_e32 v25, s3, v57
	v_cvt_f32_f16_e32 v33, v68
	v_lshrrev_b32_e32 v49, 16, v72
	v_mul_f32_e32 v57, s3, v75
	s_wait_loadcnt 0x14
	v_cvt_f32_f16_e32 v68, v70
	v_fma_mixhi_f16 v41, s2, v1, v0
	v_fma_mixlo_f16 v17, s2, v17, v25
	v_mul_f32_e32 v0, s3, v33
	v_cvt_f32_f16_e32 v1, v49
	v_lshrrev_b32_e32 v25, 16, v70
	v_fma_mixlo_f16 v33, s2, v58, v57
	v_mul_f32_e32 v49, s3, v68
	v_cvt_f32_f16_e32 v57, v71
	v_fma_mixhi_f16 v17, s2, v9, v0
	v_mul_f32_e32 v0, s3, v1
	v_cvt_f32_f16_e32 v1, v25
	v_lshrrev_b32_e32 v9, 16, v71
	v_fma_mixlo_f16 v25, s2, v50, v49
	v_mul_f32_e32 v49, s3, v57
	v_fma_mixhi_f16 v33, s2, v34, v0
	v_mul_f32_e32 v0, s3, v1
	v_cvt_f32_f16_e32 v1, v9
	v_cvt_f32_f16_e32 v9, v74
	v_lshrrev_b32_e32 v34, 16, v74
	s_wait_loadcnt 0x13
	v_cvt_f32_f16_e32 v50, v69
	v_fma_mixlo_f16 v42, s2, v42, v49
	v_fma_mixhi_f16 v25, s2, v26, v0
	v_mul_f32_e32 v0, s3, v1
	v_mul_f32_e32 v1, s3, v9
	v_cvt_f32_f16_e32 v9, v34
	v_lshrrev_b32_e32 v26, 16, v69
	v_mul_f32_e32 v34, s3, v50
	s_wait_loadcnt 0x12
	v_cvt_f32_f16_e32 v49, v76
	v_fma_mixhi_f16 v42, s2, v2, v0
	v_fma_mixlo_f16 v18, s2, v18, v1
	v_mul_f32_e32 v0, s3, v9
	v_cvt_f32_f16_e32 v1, v26
	v_lshrrev_b32_e32 v2, 16, v76
	v_fma_mixlo_f16 v26, s2, v59, v34
	v_mul_f32_e32 v9, s3, v49
	s_wait_loadcnt 0x11
	v_cvt_f32_f16_e32 v34, v79
	v_fma_mixhi_f16 v18, s2, v10, v0
	v_mul_f32_e32 v0, s3, v1
	v_cvt_f32_f16_e32 v1, v2
	v_lshrrev_b32_e32 v2, 16, v79
	v_fma_mixlo_f16 v10, s2, v51, v9
	v_mul_f32_e32 v9, s3, v34
	v_fma_mixhi_f16 v26, s2, v35, v0
	v_mul_f32_e32 v0, s3, v1
	v_cvt_f32_f16_e32 v1, v2
	s_wait_loadcnt 0xf
	v_cvt_f32_f16_e32 v2, v82
	v_lshrrev_b32_e32 v34, 16, v82
	v_cvt_f32_f16_e32 v35, v83
	v_fma_mixlo_f16 v43, s2, v43, v9
	v_fma_mixhi_f16 v10, s2, v27, v0
	v_dual_mul_f32 v0, s3, v1 :: v_dual_mul_f32 v1, s3, v2
	v_cvt_f32_f16_e32 v2, v34
	v_lshrrev_b32_e32 v9, 16, v83
	v_mul_f32_e32 v27, s3, v35
	s_wait_loadcnt 0xe
	v_cvt_f32_f16_e32 v34, v84
	v_fma_mixhi_f16 v43, s2, v3, v0
	v_fma_mixlo_f16 v19, s2, v19, v1
	v_mul_f32_e32 v0, s3, v2
	v_cvt_f32_f16_e32 v1, v9
	v_lshrrev_b32_e32 v2, 16, v84
	v_fma_mixlo_f16 v27, s2, v60, v27
	v_mul_f32_e32 v3, s3, v34
	s_wait_loadcnt 0xc
	v_cvt_f32_f16_e32 v9, v85
	v_fma_mixhi_f16 v19, s2, v11, v0
	v_mul_f32_e32 v0, s3, v1
	v_cvt_f32_f16_e32 v1, v2
	v_lshrrev_b32_e32 v2, 16, v85
	v_fma_mixlo_f16 v11, s2, v52, v3
	v_mul_f32_e32 v3, s3, v9
	v_fma_mixhi_f16 v27, s2, v36, v0
	v_mul_f32_e32 v0, s3, v1
	v_cvt_f32_f16_e32 v1, v87
	v_lshrrev_b32_e32 v9, 16, v87
	v_cvt_f32_f16_e32 v2, v2
	s_wait_loadcnt 0xb
	v_cvt_f32_f16_e32 v34, v86
	v_fma_mixlo_f16 v35, s2, v44, v3
	v_fma_mixhi_f16 v11, s2, v28, v0
	v_lshrrev_b32_e32 v0, 16, v86
	v_mul_f32_e32 v1, s3, v1
	v_cvt_f32_f16_e32 v3, v9
	v_mul_f32_e32 v2, s3, v2
	v_mul_f32_e32 v9, s3, v34
	v_cvt_f32_f16_e32 v0, v0
	v_fma_mixlo_f16 v20, s2, v20, v1
	v_mul_f32_e32 v1, s3, v3
	v_fma_mixhi_f16 v35, s2, v4, v2
	v_fma_mixlo_f16 v36, s2, v61, v9
	s_wait_loadcnt 0xa
	v_cvt_f32_f16_e32 v28, v88
	v_lshrrev_b32_e32 v34, 16, v88
	s_wait_loadcnt 0x9
	v_cvt_f32_f16_e32 v3, v89
	v_lshrrev_b32_e32 v4, 16, v89
	v_mul_f32_e32 v0, s3, v0
	v_mul_f32_e32 v2, s3, v28
	v_cvt_f32_f16_e32 v9, v34
	v_fma_mixhi_f16 v20, s2, v12, v1
	v_mul_f32_e32 v1, s3, v3
	v_cvt_f32_f16_e32 v3, v4
	v_fma_mixlo_f16 v12, s2, v53, v2
	s_wait_loadcnt 0x8
	v_lshrrev_b32_e32 v2, 16, v90
	v_cvt_f32_f16_e32 v4, v90
	v_mul_f32_e32 v9, s3, v9
	v_fma_mixhi_f16 v36, s2, v37, v0
	s_wait_loadcnt 0x7
	v_cvt_f32_f16_e32 v0, v91
	v_fma_mixlo_f16 v28, s2, v45, v1
	v_lshrrev_b32_e32 v1, 16, v91
	v_dual_mul_f32 v3, s3, v3 :: v_dual_mul_f32 v4, s3, v4
	v_cvt_f32_f16_e32 v2, v2
	v_fma_mixhi_f16 v12, s2, v29, v9
	v_mul_f32_e32 v0, s3, v0
	s_wait_loadcnt 0x6
	v_cvt_f32_f16_e32 v9, v92
	v_lshrrev_b32_e32 v29, 16, v92
	v_cvt_f32_f16_e32 v1, v1
	v_fma_mixlo_f16 v21, s2, v21, v4
	v_mul_f32_e32 v2, s3, v2
	v_fma_mixhi_f16 v28, s2, v5, v3
	v_fma_mixlo_f16 v34, s2, v62, v0
	v_mul_f32_e32 v0, s3, v9
	s_wait_loadcnt 0x5
	v_cvt_f32_f16_e32 v3, v93
	v_lshrrev_b32_e32 v4, 16, v93
	v_mul_f32_e32 v1, s3, v1
	v_cvt_f32_f16_e32 v5, v29
	v_fma_mixhi_f16 v21, s2, v13, v2
	v_fma_mixlo_f16 v13, s2, v54, v0
	v_mul_f32_e32 v0, s3, v3
	v_cvt_f32_f16_e32 v3, v4
	s_wait_loadcnt 0x4
	v_cvt_f32_f16_e32 v4, v94
	v_mul_f32_e32 v5, s3, v5
	v_fma_mixhi_f16 v34, s2, v38, v1
	s_wait_loadcnt 0x3
	v_cvt_f32_f16_e32 v1, v96
	v_fma_mixlo_f16 v29, s2, v46, v0
	v_dual_mul_f32 v3, s3, v3 :: v_dual_mul_f32 v4, s3, v4
	v_fma_mixhi_f16 v13, s2, v30, v5
	s_delay_alu instid0(VALU_DEP_4)
	v_mul_f32_e32 v1, s3, v1
	s_wait_loadcnt 0x2
	v_cvt_f32_f16_e32 v5, v95
	v_lshrrev_b32_e32 v0, 16, v96
	v_fma_mixlo_f16 v22, s2, v22, v4
	v_fma_mixhi_f16 v29, s2, v6, v3
	v_fma_mixlo_f16 v30, s2, v63, v1
	v_mul_f32_e32 v1, s3, v5
	s_wait_loadcnt 0x1
	v_cvt_f32_f16_e32 v3, v101
	v_lshrrev_b32_e32 v4, 16, v101
	v_lshrrev_b32_e32 v9, 16, v95
	v_cvt_f32_f16_e32 v0, v0
	v_fma_mixlo_f16 v37, s2, v55, v1
	v_mul_f32_e32 v1, s3, v3
	v_cvt_f32_f16_e32 v3, v4
	v_lshrrev_b32_e32 v2, 16, v94
	v_cvt_f32_f16_e32 v5, v9
	s_wait_loadcnt 0x0
	v_cvt_f32_f16_e32 v6, v100
	v_lshrrev_b32_e32 v9, 16, v100
	v_mul_f32_e32 v0, s3, v0
	v_fma_mixlo_f16 v38, s2, v47, v1
	v_mul_f32_e32 v1, s3, v3
	v_cvt_f32_f16_e32 v2, v2
	v_mul_f32_e32 v4, s3, v6
	v_cvt_f32_f16_e32 v6, v9
	v_mul_f32_e32 v5, s3, v5
	v_fma_mixhi_f16 v30, s2, v39, v0
	v_fma_mixhi_f16 v38, s2, v7, v1
	v_lshlrev_b64_e32 v[0:1], 1, v[65:66]
	v_dual_mul_f32 v2, s3, v2 :: v_dual_add_nc_u32 v65, s15, v65
	v_fma_mixlo_f16 v23, s2, v23, v4
	v_mul_f32_e32 v3, s3, v6
	v_fma_mixhi_f16 v37, s2, v31, v5
	s_delay_alu instid0(VALU_DEP_4)
	v_lshlrev_b64_e32 v[4:5], 1, v[65:66]
	v_add_nc_u32_e32 v65, s15, v65
	v_fma_mixhi_f16 v22, s2, v14, v2
	v_add_co_u32 v2, vcc_lo, v64, v102
	v_fma_mixhi_f16 v23, s2, v15, v3
	s_wait_alu 0xfffd
	v_add_co_ci_u32_e64 v3, null, v67, v103, vcc_lo
	v_add_co_u32 v0, vcc_lo, v64, v0
	s_wait_alu 0xfffd
	v_add_co_ci_u32_e64 v1, null, v67, v1, vcc_lo
	v_add_co_u32 v4, vcc_lo, v64, v4
	v_lshlrev_b64_e32 v[6:7], 1, v[65:66]
	v_add_nc_u32_e32 v65, s15, v65
	s_wait_alu 0xfffd
	v_add_co_ci_u32_e64 v5, null, v67, v5, vcc_lo
	s_clause 0x2
	global_store_b32 v[2:3], v56, off
	global_store_b32 v[0:1], v48, off
	global_store_b32 v[4:5], v40, off
	v_lshlrev_b64_e32 v[0:1], 1, v[65:66]
	v_add_nc_u32_e32 v65, s15, v65
	v_add_co_u32 v2, vcc_lo, v64, v6
	s_wait_alu 0xfffd
	v_add_co_ci_u32_e64 v3, null, v67, v7, vcc_lo
	s_delay_alu instid0(VALU_DEP_3) | instskip(SKIP_4) | instid1(VALU_DEP_3)
	v_lshlrev_b64_e32 v[4:5], 1, v[65:66]
	v_add_nc_u32_e32 v65, s15, v65
	v_add_co_u32 v0, vcc_lo, v64, v0
	s_wait_alu 0xfffd
	v_add_co_ci_u32_e64 v1, null, v67, v1, vcc_lo
	v_lshlrev_b64_e32 v[6:7], 1, v[65:66]
	v_add_nc_u32_e32 v65, s15, v65
	v_add_co_u32 v4, vcc_lo, v64, v4
	s_wait_alu 0xfffd
	v_add_co_ci_u32_e64 v5, null, v67, v5, vcc_lo
	s_delay_alu instid0(VALU_DEP_3)
	v_lshlrev_b64_e32 v[8:9], 1, v[65:66]
	v_add_nc_u32_e32 v65, s15, v65
	v_add_co_u32 v6, vcc_lo, v64, v6
	s_wait_alu 0xfffd
	v_add_co_ci_u32_e64 v7, null, v67, v7, vcc_lo
	s_clause 0x3
	global_store_b32 v[2:3], v16, off
	global_store_b32 v[0:1], v24, off
	global_store_b32 v[4:5], v32, off
	global_store_b32 v[6:7], v41, off
	v_lshlrev_b64_e32 v[0:1], 1, v[65:66]
	v_add_nc_u32_e32 v65, s15, v65
	v_add_co_u32 v2, vcc_lo, v64, v8
	s_wait_alu 0xfffd
	v_add_co_ci_u32_e64 v3, null, v67, v9, vcc_lo
	s_delay_alu instid0(VALU_DEP_3) | instskip(SKIP_4) | instid1(VALU_DEP_3)
	v_lshlrev_b64_e32 v[4:5], 1, v[65:66]
	v_add_nc_u32_e32 v65, s15, v65
	v_add_co_u32 v0, vcc_lo, v64, v0
	s_wait_alu 0xfffd
	v_add_co_ci_u32_e64 v1, null, v67, v1, vcc_lo
	v_lshlrev_b64_e32 v[6:7], 1, v[65:66]
	v_add_nc_u32_e32 v65, s15, v65
	v_add_co_u32 v4, vcc_lo, v64, v4
	s_wait_alu 0xfffd
	v_add_co_ci_u32_e64 v5, null, v67, v5, vcc_lo
	s_delay_alu instid0(VALU_DEP_3)
	v_lshlrev_b64_e32 v[8:9], 1, v[65:66]
	v_add_nc_u32_e32 v65, s15, v65
	v_add_co_u32 v6, vcc_lo, v64, v6
	s_wait_alu 0xfffd
	v_add_co_ci_u32_e64 v7, null, v67, v7, vcc_lo
	s_clause 0x3
	global_store_b32 v[2:3], v17, off
	;; [unrolled: 27-line block ×6, first 2 shown]
	global_store_b32 v[0:1], v34, off
	global_store_b32 v[4:5], v13, off
	;; [unrolled: 1-line block ×3, first 2 shown]
	v_lshlrev_b64_e32 v[0:1], 1, v[65:66]
	v_add_nc_u32_e32 v65, s15, v65
	v_add_co_u32 v2, vcc_lo, v64, v8
	s_wait_alu 0xfffd
	v_add_co_ci_u32_e64 v3, null, v67, v9, vcc_lo
	s_delay_alu instid0(VALU_DEP_3) | instskip(SKIP_4) | instid1(VALU_DEP_3)
	v_lshlrev_b64_e32 v[4:5], 1, v[65:66]
	v_add_nc_u32_e32 v65, s15, v65
	v_add_co_u32 v0, vcc_lo, v64, v0
	s_wait_alu 0xfffd
	v_add_co_ci_u32_e64 v1, null, v67, v1, vcc_lo
	v_lshlrev_b64_e32 v[6:7], 1, v[65:66]
	v_add_nc_u32_e32 v65, s15, v65
	v_add_co_u32 v4, vcc_lo, v64, v4
	s_wait_alu 0xfffd
	v_add_co_ci_u32_e64 v5, null, v67, v5, vcc_lo
	s_delay_alu instid0(VALU_DEP_3) | instskip(SKIP_3) | instid1(VALU_DEP_3)
	v_lshlrev_b64_e32 v[8:9], 1, v[65:66]
	v_add_co_u32 v6, vcc_lo, v64, v6
	s_wait_alu 0xfffd
	v_add_co_ci_u32_e64 v7, null, v67, v7, vcc_lo
	v_add_co_u32 v8, vcc_lo, v64, v8
	s_wait_alu 0xfffd
	v_add_co_ci_u32_e64 v9, null, v67, v9, vcc_lo
	s_clause 0x4
	global_store_b32 v[2:3], v22, off
	global_store_b32 v[0:1], v30, off
	global_store_b32 v[4:5], v37, off
	global_store_b32 v[6:7], v38, off
	global_store_b32 v[8:9], v23, off
.LBB0_9:
	s_nop 0
	s_sendmsg sendmsg(MSG_DEALLOC_VGPRS)
	s_endpgm
	.section	.rodata,"a",@progbits
	.p2align	6, 0x0
	.amdhsa_kernel _Z14gemm_rocwmma_djjjPKDF16_S0_S0_PDF16_jjjjff
		.amdhsa_group_segment_fixed_size 0
		.amdhsa_private_segment_fixed_size 0
		.amdhsa_kernarg_size 72
		.amdhsa_user_sgpr_count 2
		.amdhsa_user_sgpr_dispatch_ptr 0
		.amdhsa_user_sgpr_queue_ptr 0
		.amdhsa_user_sgpr_kernarg_segment_ptr 1
		.amdhsa_user_sgpr_dispatch_id 0
		.amdhsa_user_sgpr_private_segment_size 0
		.amdhsa_wavefront_size32 1
		.amdhsa_uses_dynamic_stack 0
		.amdhsa_enable_private_segment 0
		.amdhsa_system_sgpr_workgroup_id_x 1
		.amdhsa_system_sgpr_workgroup_id_y 1
		.amdhsa_system_sgpr_workgroup_id_z 0
		.amdhsa_system_sgpr_workgroup_info 0
		.amdhsa_system_vgpr_workitem_id 1
		.amdhsa_next_free_vgpr 117
		.amdhsa_next_free_sgpr 26
		.amdhsa_reserve_vcc 1
		.amdhsa_float_round_mode_32 0
		.amdhsa_float_round_mode_16_64 0
		.amdhsa_float_denorm_mode_32 3
		.amdhsa_float_denorm_mode_16_64 3
		.amdhsa_fp16_overflow 0
		.amdhsa_workgroup_processor_mode 1
		.amdhsa_memory_ordered 1
		.amdhsa_forward_progress 1
		.amdhsa_inst_pref_size 53
		.amdhsa_round_robin_scheduling 0
		.amdhsa_exception_fp_ieee_invalid_op 0
		.amdhsa_exception_fp_denorm_src 0
		.amdhsa_exception_fp_ieee_div_zero 0
		.amdhsa_exception_fp_ieee_overflow 0
		.amdhsa_exception_fp_ieee_underflow 0
		.amdhsa_exception_fp_ieee_inexact 0
		.amdhsa_exception_int_div_zero 0
	.end_amdhsa_kernel
	.text
.Lfunc_end0:
	.size	_Z14gemm_rocwmma_djjjPKDF16_S0_S0_PDF16_jjjjff, .Lfunc_end0-_Z14gemm_rocwmma_djjjPKDF16_S0_S0_PDF16_jjjjff
                                        ; -- End function
	.set _Z14gemm_rocwmma_djjjPKDF16_S0_S0_PDF16_jjjjff.num_vgpr, 117
	.set _Z14gemm_rocwmma_djjjPKDF16_S0_S0_PDF16_jjjjff.num_agpr, 0
	.set _Z14gemm_rocwmma_djjjPKDF16_S0_S0_PDF16_jjjjff.numbered_sgpr, 26
	.set _Z14gemm_rocwmma_djjjPKDF16_S0_S0_PDF16_jjjjff.num_named_barrier, 0
	.set _Z14gemm_rocwmma_djjjPKDF16_S0_S0_PDF16_jjjjff.private_seg_size, 0
	.set _Z14gemm_rocwmma_djjjPKDF16_S0_S0_PDF16_jjjjff.uses_vcc, 1
	.set _Z14gemm_rocwmma_djjjPKDF16_S0_S0_PDF16_jjjjff.uses_flat_scratch, 0
	.set _Z14gemm_rocwmma_djjjPKDF16_S0_S0_PDF16_jjjjff.has_dyn_sized_stack, 0
	.set _Z14gemm_rocwmma_djjjPKDF16_S0_S0_PDF16_jjjjff.has_recursion, 0
	.set _Z14gemm_rocwmma_djjjPKDF16_S0_S0_PDF16_jjjjff.has_indirect_call, 0
	.section	.AMDGPU.csdata,"",@progbits
; Kernel info:
; codeLenInByte = 6708
; TotalNumSgprs: 28
; NumVgprs: 117
; ScratchSize: 0
; MemoryBound: 0
; FloatMode: 240
; IeeeMode: 1
; LDSByteSize: 0 bytes/workgroup (compile time only)
; SGPRBlocks: 0
; VGPRBlocks: 14
; NumSGPRsForWavesPerEU: 28
; NumVGPRsForWavesPerEU: 117
; Occupancy: 12
; WaveLimiterHint : 0
; COMPUTE_PGM_RSRC2:SCRATCH_EN: 0
; COMPUTE_PGM_RSRC2:USER_SGPR: 2
; COMPUTE_PGM_RSRC2:TRAP_HANDLER: 0
; COMPUTE_PGM_RSRC2:TGID_X_EN: 1
; COMPUTE_PGM_RSRC2:TGID_Y_EN: 1
; COMPUTE_PGM_RSRC2:TGID_Z_EN: 0
; COMPUTE_PGM_RSRC2:TIDIG_COMP_CNT: 1
	.text
	.p2alignl 7, 3214868480
	.fill 96, 4, 3214868480
	.section	.AMDGPU.gpr_maximums,"",@progbits
	.set amdgpu.max_num_vgpr, 0
	.set amdgpu.max_num_agpr, 0
	.set amdgpu.max_num_sgpr, 0
	.text
	.type	__hip_cuid_228c77ea9e22b5fb,@object ; @__hip_cuid_228c77ea9e22b5fb
	.section	.bss,"aw",@nobits
	.globl	__hip_cuid_228c77ea9e22b5fb
__hip_cuid_228c77ea9e22b5fb:
	.byte	0                               ; 0x0
	.size	__hip_cuid_228c77ea9e22b5fb, 1

	.ident	"AMD clang version 22.0.0git (https://github.com/RadeonOpenCompute/llvm-project roc-7.2.4 26084 f58b06dce1f9c15707c5f808fd002e18c2accf7e)"
	.section	".note.GNU-stack","",@progbits
	.addrsig
	.addrsig_sym __hip_cuid_228c77ea9e22b5fb
	.amdgpu_metadata
---
amdhsa.kernels:
  - .args:
      - .offset:         0
        .size:           4
        .value_kind:     by_value
      - .offset:         4
        .size:           4
        .value_kind:     by_value
      - .offset:         8
        .size:           4
        .value_kind:     by_value
      - .address_space:  global
        .offset:         16
        .size:           8
        .value_kind:     global_buffer
      - .address_space:  global
        .offset:         24
        .size:           8
        .value_kind:     global_buffer
      - .address_space:  global
        .offset:         32
        .size:           8
        .value_kind:     global_buffer
      - .address_space:  global
        .offset:         40
        .size:           8
        .value_kind:     global_buffer
      - .offset:         48
        .size:           4
        .value_kind:     by_value
      - .offset:         52
        .size:           4
        .value_kind:     by_value
      - .offset:         56
        .size:           4
        .value_kind:     by_value
      - .offset:         60
        .size:           4
        .value_kind:     by_value
      - .offset:         64
        .size:           4
        .value_kind:     by_value
      - .offset:         68
        .size:           4
        .value_kind:     by_value
    .group_segment_fixed_size: 0
    .kernarg_segment_align: 8
    .kernarg_segment_size: 72
    .language:       OpenCL C
    .language_version:
      - 2
      - 0
    .max_flat_workgroup_size: 256
    .name:           _Z14gemm_rocwmma_djjjPKDF16_S0_S0_PDF16_jjjjff
    .private_segment_fixed_size: 0
    .sgpr_count:     28
    .sgpr_spill_count: 0
    .symbol:         _Z14gemm_rocwmma_djjjPKDF16_S0_S0_PDF16_jjjjff.kd
    .uniform_work_group_size: 1
    .uses_dynamic_stack: false
    .vgpr_count:     117
    .vgpr_spill_count: 0
    .wavefront_size: 32
    .workgroup_processor_mode: 1
amdhsa.target:   amdgcn-amd-amdhsa--gfx1201
amdhsa.version:
  - 1
  - 2
...

	.end_amdgpu_metadata
